;; amdgpu-corpus repo=ROCm/rocFFT kind=compiled arch=gfx906 opt=O3
	.text
	.amdgcn_target "amdgcn-amd-amdhsa--gfx906"
	.amdhsa_code_object_version 6
	.protected	fft_rtc_back_len1100_factors_2_2_11_5_5_wgs_110_tpt_110_half_ip_CI_sbrr_dirReg ; -- Begin function fft_rtc_back_len1100_factors_2_2_11_5_5_wgs_110_tpt_110_half_ip_CI_sbrr_dirReg
	.globl	fft_rtc_back_len1100_factors_2_2_11_5_5_wgs_110_tpt_110_half_ip_CI_sbrr_dirReg
	.p2align	8
	.type	fft_rtc_back_len1100_factors_2_2_11_5_5_wgs_110_tpt_110_half_ip_CI_sbrr_dirReg,@function
fft_rtc_back_len1100_factors_2_2_11_5_5_wgs_110_tpt_110_half_ip_CI_sbrr_dirReg: ; @fft_rtc_back_len1100_factors_2_2_11_5_5_wgs_110_tpt_110_half_ip_CI_sbrr_dirReg
; %bb.0:
	s_load_dwordx2 s[14:15], s[4:5], 0x18
	s_load_dwordx4 s[8:11], s[4:5], 0x0
	s_load_dwordx2 s[12:13], s[4:5], 0x50
	v_mul_u32_u24_e32 v1, 0x254, v0
	v_add_u32_sdwa v5, s6, v1 dst_sel:DWORD dst_unused:UNUSED_PAD src0_sel:DWORD src1_sel:WORD_1
	s_waitcnt lgkmcnt(0)
	s_load_dwordx2 s[2:3], s[14:15], 0x0
	v_cmp_lt_u64_e64 s[0:1], s[10:11], 2
	v_mov_b32_e32 v3, 0
	v_mov_b32_e32 v1, 0
	;; [unrolled: 1-line block ×3, first 2 shown]
	s_and_b64 vcc, exec, s[0:1]
	v_mov_b32_e32 v2, 0
	s_cbranch_vccnz .LBB0_8
; %bb.1:
	s_load_dwordx2 s[0:1], s[4:5], 0x10
	s_add_u32 s6, s14, 8
	s_addc_u32 s7, s15, 0
	v_mov_b32_e32 v1, 0
	v_mov_b32_e32 v2, 0
	s_waitcnt lgkmcnt(0)
	s_add_u32 s16, s0, 8
	s_addc_u32 s17, s1, 0
	s_mov_b64 s[18:19], 1
.LBB0_2:                                ; =>This Inner Loop Header: Depth=1
	s_load_dwordx2 s[20:21], s[16:17], 0x0
                                        ; implicit-def: $vgpr7_vgpr8
	s_waitcnt lgkmcnt(0)
	v_or_b32_e32 v4, s21, v6
	v_cmp_ne_u64_e32 vcc, 0, v[3:4]
	s_and_saveexec_b64 s[0:1], vcc
	s_xor_b64 s[22:23], exec, s[0:1]
	s_cbranch_execz .LBB0_4
; %bb.3:                                ;   in Loop: Header=BB0_2 Depth=1
	v_cvt_f32_u32_e32 v4, s20
	v_cvt_f32_u32_e32 v7, s21
	s_sub_u32 s0, 0, s20
	s_subb_u32 s1, 0, s21
	v_mac_f32_e32 v4, 0x4f800000, v7
	v_rcp_f32_e32 v4, v4
	v_mul_f32_e32 v4, 0x5f7ffffc, v4
	v_mul_f32_e32 v7, 0x2f800000, v4
	v_trunc_f32_e32 v7, v7
	v_mac_f32_e32 v4, 0xcf800000, v7
	v_cvt_u32_f32_e32 v7, v7
	v_cvt_u32_f32_e32 v4, v4
	v_mul_lo_u32 v8, s0, v7
	v_mul_hi_u32 v9, s0, v4
	v_mul_lo_u32 v11, s1, v4
	v_mul_lo_u32 v10, s0, v4
	v_add_u32_e32 v8, v9, v8
	v_add_u32_e32 v8, v8, v11
	v_mul_hi_u32 v9, v4, v10
	v_mul_lo_u32 v11, v4, v8
	v_mul_hi_u32 v13, v4, v8
	v_mul_hi_u32 v12, v7, v10
	v_mul_lo_u32 v10, v7, v10
	v_mul_hi_u32 v14, v7, v8
	v_add_co_u32_e32 v9, vcc, v9, v11
	v_addc_co_u32_e32 v11, vcc, 0, v13, vcc
	v_mul_lo_u32 v8, v7, v8
	v_add_co_u32_e32 v9, vcc, v9, v10
	v_addc_co_u32_e32 v9, vcc, v11, v12, vcc
	v_addc_co_u32_e32 v10, vcc, 0, v14, vcc
	v_add_co_u32_e32 v8, vcc, v9, v8
	v_addc_co_u32_e32 v9, vcc, 0, v10, vcc
	v_add_co_u32_e32 v4, vcc, v4, v8
	v_addc_co_u32_e32 v7, vcc, v7, v9, vcc
	v_mul_lo_u32 v8, s0, v7
	v_mul_hi_u32 v9, s0, v4
	v_mul_lo_u32 v10, s1, v4
	v_mul_lo_u32 v11, s0, v4
	v_add_u32_e32 v8, v9, v8
	v_add_u32_e32 v8, v8, v10
	v_mul_lo_u32 v12, v4, v8
	v_mul_hi_u32 v13, v4, v11
	v_mul_hi_u32 v14, v4, v8
	;; [unrolled: 1-line block ×3, first 2 shown]
	v_mul_lo_u32 v11, v7, v11
	v_mul_hi_u32 v9, v7, v8
	v_add_co_u32_e32 v12, vcc, v13, v12
	v_addc_co_u32_e32 v13, vcc, 0, v14, vcc
	v_mul_lo_u32 v8, v7, v8
	v_add_co_u32_e32 v11, vcc, v12, v11
	v_addc_co_u32_e32 v10, vcc, v13, v10, vcc
	v_addc_co_u32_e32 v9, vcc, 0, v9, vcc
	v_add_co_u32_e32 v8, vcc, v10, v8
	v_addc_co_u32_e32 v9, vcc, 0, v9, vcc
	v_add_co_u32_e32 v4, vcc, v4, v8
	v_addc_co_u32_e32 v9, vcc, v7, v9, vcc
	v_mad_u64_u32 v[7:8], s[0:1], v5, v9, 0
	v_mul_hi_u32 v10, v5, v4
	v_add_co_u32_e32 v11, vcc, v10, v7
	v_addc_co_u32_e32 v12, vcc, 0, v8, vcc
	v_mad_u64_u32 v[7:8], s[0:1], v6, v4, 0
	v_mad_u64_u32 v[9:10], s[0:1], v6, v9, 0
	v_add_co_u32_e32 v4, vcc, v11, v7
	v_addc_co_u32_e32 v4, vcc, v12, v8, vcc
	v_addc_co_u32_e32 v7, vcc, 0, v10, vcc
	v_add_co_u32_e32 v4, vcc, v4, v9
	v_addc_co_u32_e32 v9, vcc, 0, v7, vcc
	v_mul_lo_u32 v10, s21, v4
	v_mul_lo_u32 v11, s20, v9
	v_mad_u64_u32 v[7:8], s[0:1], s20, v4, 0
	v_add3_u32 v8, v8, v11, v10
	v_sub_u32_e32 v10, v6, v8
	v_mov_b32_e32 v11, s21
	v_sub_co_u32_e32 v7, vcc, v5, v7
	v_subb_co_u32_e64 v10, s[0:1], v10, v11, vcc
	v_subrev_co_u32_e64 v11, s[0:1], s20, v7
	v_subbrev_co_u32_e64 v10, s[0:1], 0, v10, s[0:1]
	v_cmp_le_u32_e64 s[0:1], s21, v10
	v_cndmask_b32_e64 v12, 0, -1, s[0:1]
	v_cmp_le_u32_e64 s[0:1], s20, v11
	v_cndmask_b32_e64 v11, 0, -1, s[0:1]
	v_cmp_eq_u32_e64 s[0:1], s21, v10
	v_cndmask_b32_e64 v10, v12, v11, s[0:1]
	v_add_co_u32_e64 v11, s[0:1], 2, v4
	v_addc_co_u32_e64 v12, s[0:1], 0, v9, s[0:1]
	v_add_co_u32_e64 v13, s[0:1], 1, v4
	v_addc_co_u32_e64 v14, s[0:1], 0, v9, s[0:1]
	v_subb_co_u32_e32 v8, vcc, v6, v8, vcc
	v_cmp_ne_u32_e64 s[0:1], 0, v10
	v_cmp_le_u32_e32 vcc, s21, v8
	v_cndmask_b32_e64 v10, v14, v12, s[0:1]
	v_cndmask_b32_e64 v12, 0, -1, vcc
	v_cmp_le_u32_e32 vcc, s20, v7
	v_cndmask_b32_e64 v7, 0, -1, vcc
	v_cmp_eq_u32_e32 vcc, s21, v8
	v_cndmask_b32_e32 v7, v12, v7, vcc
	v_cmp_ne_u32_e32 vcc, 0, v7
	v_cndmask_b32_e64 v7, v13, v11, s[0:1]
	v_cndmask_b32_e32 v8, v9, v10, vcc
	v_cndmask_b32_e32 v7, v4, v7, vcc
.LBB0_4:                                ;   in Loop: Header=BB0_2 Depth=1
	s_andn2_saveexec_b64 s[0:1], s[22:23]
	s_cbranch_execz .LBB0_6
; %bb.5:                                ;   in Loop: Header=BB0_2 Depth=1
	v_cvt_f32_u32_e32 v4, s20
	s_sub_i32 s22, 0, s20
	v_rcp_iflag_f32_e32 v4, v4
	v_mul_f32_e32 v4, 0x4f7ffffe, v4
	v_cvt_u32_f32_e32 v4, v4
	v_mul_lo_u32 v7, s22, v4
	v_mul_hi_u32 v7, v4, v7
	v_add_u32_e32 v4, v4, v7
	v_mul_hi_u32 v4, v5, v4
	v_mul_lo_u32 v7, v4, s20
	v_add_u32_e32 v8, 1, v4
	v_sub_u32_e32 v7, v5, v7
	v_subrev_u32_e32 v9, s20, v7
	v_cmp_le_u32_e32 vcc, s20, v7
	v_cndmask_b32_e32 v7, v7, v9, vcc
	v_cndmask_b32_e32 v4, v4, v8, vcc
	v_add_u32_e32 v8, 1, v4
	v_cmp_le_u32_e32 vcc, s20, v7
	v_cndmask_b32_e32 v7, v4, v8, vcc
	v_mov_b32_e32 v8, v3
.LBB0_6:                                ;   in Loop: Header=BB0_2 Depth=1
	s_or_b64 exec, exec, s[0:1]
	v_mul_lo_u32 v4, v8, s20
	v_mul_lo_u32 v11, v7, s21
	v_mad_u64_u32 v[9:10], s[0:1], v7, s20, 0
	s_load_dwordx2 s[0:1], s[6:7], 0x0
	s_add_u32 s18, s18, 1
	v_add3_u32 v4, v10, v11, v4
	v_sub_co_u32_e32 v5, vcc, v5, v9
	v_subb_co_u32_e32 v4, vcc, v6, v4, vcc
	s_waitcnt lgkmcnt(0)
	v_mul_lo_u32 v4, s0, v4
	v_mul_lo_u32 v6, s1, v5
	v_mad_u64_u32 v[1:2], s[0:1], s0, v5, v[1:2]
	s_addc_u32 s19, s19, 0
	s_add_u32 s6, s6, 8
	v_add3_u32 v2, v6, v2, v4
	v_mov_b32_e32 v4, s10
	v_mov_b32_e32 v5, s11
	s_addc_u32 s7, s7, 0
	v_cmp_ge_u64_e32 vcc, s[18:19], v[4:5]
	s_add_u32 s16, s16, 8
	s_addc_u32 s17, s17, 0
	s_cbranch_vccnz .LBB0_9
; %bb.7:                                ;   in Loop: Header=BB0_2 Depth=1
	v_mov_b32_e32 v5, v7
	v_mov_b32_e32 v6, v8
	s_branch .LBB0_2
.LBB0_8:
	v_mov_b32_e32 v8, v6
	v_mov_b32_e32 v7, v5
.LBB0_9:
	s_lshl_b64 s[0:1], s[10:11], 3
	s_add_u32 s0, s14, s0
	s_addc_u32 s1, s15, s1
	s_load_dwordx2 s[6:7], s[0:1], 0x0
	s_load_dwordx2 s[10:11], s[4:5], 0x20
                                        ; implicit-def: $vgpr15
	s_waitcnt lgkmcnt(0)
	v_mad_u64_u32 v[1:2], s[0:1], s6, v7, v[1:2]
	s_mov_b32 s0, 0x253c826
	v_mul_lo_u32 v3, s6, v8
	v_mul_lo_u32 v4, s7, v7
	v_mul_hi_u32 v5, v0, s0
	v_cmp_gt_u64_e32 vcc, s[10:11], v[7:8]
	v_cmp_le_u64_e64 s[0:1], s[10:11], v[7:8]
	v_add3_u32 v2, v4, v2, v3
	v_mul_u32_u24_e32 v3, 0x6e, v5
	v_sub_u32_e32 v14, v0, v3
                                        ; implicit-def: $sgpr6
                                        ; implicit-def: $vgpr3
                                        ; implicit-def: $vgpr4
                                        ; implicit-def: $vgpr5
	s_and_saveexec_b64 s[4:5], s[0:1]
	s_xor_b64 s[0:1], exec, s[4:5]
; %bb.10:
	v_add_u32_e32 v15, 0x6e, v14
	v_add_u32_e32 v3, 0xdc, v14
	;; [unrolled: 1-line block ×4, first 2 shown]
	s_mov_b32 s6, 0
; %bb.11:
	s_or_saveexec_b64 s[4:5], s[0:1]
	v_lshlrev_b64 v[0:1], 2, v[1:2]
	v_mov_b32_e32 v8, s6
	v_mov_b32_e32 v7, s6
	;; [unrolled: 1-line block ×5, first 2 shown]
                                        ; implicit-def: $vgpr13
                                        ; implicit-def: $vgpr9
                                        ; implicit-def: $vgpr10
                                        ; implicit-def: $vgpr11
                                        ; implicit-def: $vgpr16
	s_xor_b64 exec, exec, s[4:5]
	s_cbranch_execz .LBB0_13
; %bb.12:
	v_mad_u64_u32 v[2:3], s[0:1], s2, v14, 0
	v_add_u32_e32 v7, 0x226, v14
	v_mov_b32_e32 v6, s13
	v_mad_u64_u32 v[3:4], s[0:1], s3, v14, v[3:4]
	v_mad_u64_u32 v[4:5], s[0:1], s2, v7, 0
	v_add_co_u32_e64 v36, s[0:1], s12, v0
	v_addc_co_u32_e64 v37, s[0:1], v6, v1, s[0:1]
	v_mad_u64_u32 v[5:6], s[0:1], s3, v7, v[5:6]
	v_add_u32_e32 v15, 0x6e, v14
	v_lshlrev_b64 v[2:3], 2, v[2:3]
	v_mad_u64_u32 v[6:7], s[0:1], s2, v15, 0
	v_add_co_u32_e64 v12, s[0:1], v36, v2
	v_add_u32_e32 v10, 0x294, v14
	v_addc_co_u32_e64 v13, s[0:1], v37, v3, s[0:1]
	v_mad_u64_u32 v[8:9], s[0:1], s2, v10, 0
	v_lshlrev_b64 v[2:3], 2, v[4:5]
	v_mov_b32_e32 v4, v7
	v_mad_u64_u32 v[4:5], s[0:1], s3, v15, v[4:5]
	v_add_co_u32_e64 v17, s[0:1], v36, v2
	v_mov_b32_e32 v2, v9
	v_addc_co_u32_e64 v18, s[0:1], v37, v3, s[0:1]
	v_mad_u64_u32 v[2:3], s[0:1], s3, v10, v[2:3]
	v_mov_b32_e32 v7, v4
	v_add_u32_e32 v3, 0xdc, v14
	v_lshlrev_b64 v[4:5], 2, v[6:7]
	v_mad_u64_u32 v[6:7], s[0:1], s2, v3, 0
	v_add_co_u32_e64 v19, s[0:1], v36, v4
	v_mov_b32_e32 v9, v2
	v_mov_b32_e32 v2, v7
	v_addc_co_u32_e64 v20, s[0:1], v37, v5, s[0:1]
	v_lshlrev_b64 v[4:5], 2, v[8:9]
	v_mad_u64_u32 v[7:8], s[0:1], s3, v3, v[2:3]
	v_add_u32_e32 v10, 0x302, v14
	v_mad_u64_u32 v[8:9], s[0:1], s2, v10, 0
	v_add_co_u32_e64 v21, s[0:1], v36, v4
	v_mov_b32_e32 v2, v9
	v_addc_co_u32_e64 v22, s[0:1], v37, v5, s[0:1]
	v_mad_u64_u32 v[9:10], s[0:1], s3, v10, v[2:3]
	v_add_u32_e32 v4, 0x14a, v14
	v_mad_u64_u32 v[10:11], s[0:1], s2, v4, 0
	v_lshlrev_b64 v[5:6], 2, v[6:7]
	v_add_u32_e32 v16, 0x370, v14
	v_add_co_u32_e64 v23, s[0:1], v36, v5
	v_mov_b32_e32 v2, v11
	v_addc_co_u32_e64 v24, s[0:1], v37, v6, s[0:1]
	v_lshlrev_b64 v[5:6], 2, v[8:9]
	v_mad_u64_u32 v[7:8], s[0:1], s3, v4, v[2:3]
	v_mad_u64_u32 v[8:9], s[0:1], s2, v16, 0
	v_add_co_u32_e64 v25, s[0:1], v36, v5
	v_mov_b32_e32 v11, v7
	v_addc_co_u32_e64 v26, s[0:1], v37, v6, s[0:1]
	v_lshlrev_b64 v[5:6], 2, v[10:11]
	v_mov_b32_e32 v2, v9
	v_mad_u64_u32 v[9:10], s[0:1], s3, v16, v[2:3]
	v_add_co_u32_e64 v27, s[0:1], v36, v5
	v_add_u32_e32 v5, 0x1b8, v14
	v_addc_co_u32_e64 v28, s[0:1], v37, v6, s[0:1]
	v_mad_u64_u32 v[29:30], s[0:1], s2, v5, 0
	v_lshlrev_b64 v[6:7], 2, v[8:9]
	v_add_u32_e32 v38, 0x3de, v14
	v_add_co_u32_e64 v31, s[0:1], v36, v6
	v_mov_b32_e32 v2, v30
	v_addc_co_u32_e64 v32, s[0:1], v37, v7, s[0:1]
	v_mad_u64_u32 v[33:34], s[0:1], s3, v5, v[2:3]
	v_mad_u64_u32 v[34:35], s[0:1], s2, v38, 0
	global_load_dword v8, v[12:13], off
	global_load_dword v16, v[17:18], off
	;; [unrolled: 1-line block ×8, first 2 shown]
	v_mov_b32_e32 v30, v33
	v_mov_b32_e32 v17, v35
	v_mad_u64_u32 v[17:18], s[0:1], s3, v38, v[17:18]
	v_lshlrev_b64 v[12:13], 2, v[29:30]
	v_add_co_u32_e64 v18, s[0:1], v36, v12
	v_mov_b32_e32 v35, v17
	v_addc_co_u32_e64 v19, s[0:1], v37, v13, s[0:1]
	v_lshlrev_b64 v[12:13], 2, v[34:35]
	v_add_co_u32_e64 v20, s[0:1], v36, v12
	v_addc_co_u32_e64 v21, s[0:1], v37, v13, s[0:1]
	global_load_dword v12, v[18:19], off
	global_load_dword v13, v[20:21], off
.LBB0_13:
	s_or_b64 exec, exec, s[4:5]
	s_waitcnt vmcnt(8)
	v_pk_add_f16 v16, v8, v16 neg_lo:[0,1] neg_hi:[0,1]
	v_lshrrev_b32_e32 v17, 16, v8
	v_lshrrev_b32_e32 v18, 16, v16
	v_fma_f16 v17, v17, 2.0, -v18
	v_fma_f16 v8, v8, 2.0, -v16
	v_lshlrev_b32_e32 v17, 16, v17
	v_lshl_add_u32 v20, v14, 3, 0
	v_or_b32_sdwa v8, v17, v8 dst_sel:DWORD dst_unused:UNUSED_PAD src0_sel:DWORD src1_sel:WORD_0
	ds_write2_b32 v20, v8, v16 offset1:1
	s_waitcnt vmcnt(6)
	v_pk_add_f16 v8, v7, v11 neg_lo:[0,1] neg_hi:[0,1]
	v_lshl_add_u32 v17, v15, 3, 0
	v_pk_fma_f16 v7, v7, 2.0, v8 op_sel_hi:[1,0,1] neg_lo:[0,0,1] neg_hi:[0,0,1]
	ds_write2_b32 v17, v7, v8 offset1:1
	s_waitcnt vmcnt(4)
	v_pk_add_f16 v7, v6, v10 neg_lo:[0,1] neg_hi:[0,1]
	v_lshl_add_u32 v18, v3, 3, 0
	v_pk_fma_f16 v6, v6, 2.0, v7 op_sel_hi:[1,0,1] neg_lo:[0,0,1] neg_hi:[0,0,1]
	ds_write2_b32 v18, v6, v7 offset1:1
	s_waitcnt vmcnt(2)
	v_pk_add_f16 v7, v2, v9 neg_lo:[0,1] neg_hi:[0,1]
	v_lshl_add_u32 v6, v4, 3, 0
	v_pk_fma_f16 v2, v2, 2.0, v7 op_sel_hi:[1,0,1] neg_lo:[0,0,1] neg_hi:[0,0,1]
	ds_write2_b32 v6, v2, v7 offset1:1
	s_waitcnt vmcnt(0)
	v_pk_add_f16 v2, v12, v13 neg_lo:[0,1] neg_hi:[0,1]
	v_lshl_add_u32 v19, v5, 3, 0
	v_pk_fma_f16 v7, v12, 2.0, v2 op_sel_hi:[1,0,1] neg_lo:[0,0,1] neg_hi:[0,0,1]
	ds_write2_b32 v19, v7, v2 offset1:1
	v_and_b32_e32 v7, 1, v14
	v_lshlrev_b32_e32 v2, 2, v7
	s_waitcnt lgkmcnt(0)
	s_barrier
	global_load_dword v8, v2, s[8:9]
	v_lshlrev_b32_e32 v2, 2, v14
	v_lshlrev_b32_e32 v22, 2, v3
	;; [unrolled: 1-line block ×5, first 2 shown]
	s_movk_i32 s4, 0x3fc
	v_sub_u32_e32 v13, v20, v2
	v_lshlrev_b32_e32 v10, 1, v3
	v_lshlrev_b32_e32 v5, 1, v5
	s_movk_i32 s0, 0xfc
	s_movk_i32 s1, 0x1fc
	;; [unrolled: 1-line block ×3, first 2 shown]
	v_lshlrev_b32_e32 v11, 1, v14
	v_lshlrev_b32_e32 v12, 1, v15
	;; [unrolled: 1-line block ×3, first 2 shown]
	v_sub_u32_e32 v16, v18, v22
	v_sub_u32_e32 v9, v6, v9
	v_sub_u32_e32 v21, v19, v23
	v_and_or_b32 v27, v4, s4, v7
	v_add_u32_e32 v4, 0xc00, v13
	v_add_u32_e32 v6, 0x800, v13
	v_and_or_b32 v24, v11, s0, v7
	v_and_or_b32 v25, v12, s1, v7
	;; [unrolled: 1-line block ×4, first 2 shown]
	v_sub_u32_e32 v10, v17, v3
	ds_read2_b32 v[4:5], v4 offset0:2 offset1:112
	ds_read2_b32 v[6:7], v6 offset0:38 offset1:148
	ds_read_b32 v12, v9
	ds_read_b32 v21, v21
	;; [unrolled: 1-line block ×4, first 2 shown]
	ds_read_b32 v9, v13 offset:3960
	ds_read_b32 v30, v13
	s_mov_b32 s6, 0xffff
	s_movk_i32 s0, 0x64
	s_waitcnt vmcnt(0) lgkmcnt(0)
	s_barrier
	v_cmp_gt_u32_e64 s[0:1], s0, v14
	v_pk_mul_f16 v10, v8, v5 op_sel:[0,1]
	v_pk_mul_f16 v11, v8, v4 op_sel:[0,1]
	;; [unrolled: 1-line block ×5, first 2 shown]
	v_pk_fma_f16 v33, v8, v5, v10 op_sel:[0,0,1] op_sel_hi:[1,1,0]
	v_pk_fma_f16 v5, v8, v5, v10 op_sel:[0,0,1] op_sel_hi:[1,0,0] neg_lo:[1,0,0] neg_hi:[1,0,0]
	v_pk_fma_f16 v10, v8, v4, v11 op_sel:[0,0,1] op_sel_hi:[1,1,0]
	v_pk_fma_f16 v4, v8, v4, v11 op_sel:[0,0,1] op_sel_hi:[1,0,0] neg_lo:[1,0,0] neg_hi:[1,0,0]
	;; [unrolled: 2-line block ×5, first 2 shown]
	v_bfi_b32 v4, s6, v10, v4
	v_bfi_b32 v6, s6, v6, v8
	;; [unrolled: 1-line block ×4, first 2 shown]
	v_pk_add_f16 v7, v16, v4 neg_lo:[0,1] neg_hi:[0,1]
	v_bfi_b32 v4, s6, v34, v31
	v_pk_add_f16 v9, v21, v6 neg_lo:[0,1] neg_hi:[0,1]
	v_pk_add_f16 v11, v12, v5 neg_lo:[0,1] neg_hi:[0,1]
	;; [unrolled: 1-line block ×4, first 2 shown]
	v_pk_fma_f16 v8, v21, 2.0, v9 op_sel_hi:[1,0,1] neg_lo:[0,0,1] neg_hi:[0,0,1]
	v_pk_fma_f16 v10, v12, 2.0, v11 op_sel_hi:[1,0,1] neg_lo:[0,0,1] neg_hi:[0,0,1]
	;; [unrolled: 1-line block ×5, first 2 shown]
	v_sub_u32_e32 v16, 0, v2
	v_lshl_add_u32 v21, v24, 2, 0
	v_lshl_add_u32 v24, v25, 2, 0
	;; [unrolled: 1-line block ×5, first 2 shown]
	ds_write2_b32 v21, v4, v5 offset1:2
	ds_write2_b32 v24, v12, v13 offset1:2
	;; [unrolled: 1-line block ×5, first 2 shown]
	v_lshrrev_b32_e32 v35, 16, v8
	v_lshrrev_b32_e32 v31, 16, v9
	;; [unrolled: 1-line block ×5, first 2 shown]
	v_add_u32_e32 v16, v20, v16
	v_lshrrev_b32_e32 v38, 16, v7
	v_lshrrev_b32_e32 v30, 16, v12
	;; [unrolled: 1-line block ×5, first 2 shown]
	s_waitcnt lgkmcnt(0)
	s_barrier
	s_waitcnt lgkmcnt(0)
                                        ; implicit-def: $vgpr32
                                        ; implicit-def: $vgpr27
	s_and_saveexec_b64 s[4:5], s[0:1]
	s_cbranch_execz .LBB0_15
; %bb.14:
	v_add_u32_e32 v6, 0x200, v16
	v_add_u32_e32 v7, 0x400, v16
	;; [unrolled: 1-line block ×4, first 2 shown]
	ds_read2_b32 v[4:5], v16 offset1:100
	ds_read2_b32 v[12:13], v6 offset0:72 offset1:172
	ds_read2_b32 v[8:9], v8 offset0:32 offset1:132
	;; [unrolled: 1-line block ×3, first 2 shown]
	ds_read_b32 v27, v16 offset:4000
	ds_read2_b32 v[10:11], v10 offset0:88 offset1:188
	s_waitcnt lgkmcnt(5)
	v_lshrrev_b32_e32 v21, 16, v4
	s_waitcnt lgkmcnt(3)
	v_lshrrev_b32_e32 v35, 16, v8
	v_lshrrev_b32_e32 v31, 16, v9
	s_waitcnt lgkmcnt(1)
	v_lshrrev_b32_e32 v32, 16, v27
	v_lshrrev_b32_e32 v26, 16, v5
	;; [unrolled: 1-line block ×6, first 2 shown]
	s_waitcnt lgkmcnt(0)
	v_lshrrev_b32_e32 v36, 16, v10
	v_lshrrev_b32_e32 v37, 16, v11
.LBB0_15:
	s_or_b64 exec, exec, s[4:5]
	v_sub_u32_e32 v20, 0, v3
	v_sub_u32_e32 v22, 0, v22
	;; [unrolled: 1-line block ×3, first 2 shown]
	s_barrier
	s_and_saveexec_b64 s[4:5], s[0:1]
	s_cbranch_execz .LBB0_17
; %bb.16:
	v_and_b32_e32 v24, 3, v14
	v_mul_u32_u24_e32 v28, 10, v24
	v_lshlrev_b32_e32 v28, 2, v28
	global_load_dwordx4 v[39:42], v28, s[8:9] offset:8
	global_load_dwordx2 v[47:48], v28, s[8:9] offset:40
	global_load_dwordx4 v[43:46], v28, s[8:9] offset:24
	s_movk_i32 s6, 0x36a6
	s_mov_b32 s1, 0xb93d
	s_mov_b32 s0, 0xbbad
	;; [unrolled: 1-line block ×3, first 2 shown]
	s_movk_i32 s10, 0x3abb
	s_movk_i32 s11, 0x3b47
	s_waitcnt vmcnt(2)
	v_mul_f16_sdwa v50, v5, v39 dst_sel:DWORD dst_unused:UNUSED_PAD src0_sel:DWORD src1_sel:WORD_1
	v_mul_f16_sdwa v51, v26, v39 dst_sel:DWORD dst_unused:UNUSED_PAD src0_sel:DWORD src1_sel:WORD_1
	s_waitcnt vmcnt(1)
	v_mul_f16_sdwa v54, v32, v48 dst_sel:DWORD dst_unused:UNUSED_PAD src0_sel:DWORD src1_sel:WORD_1
	v_mul_f16_sdwa v55, v27, v48 dst_sel:DWORD dst_unused:UNUSED_PAD src0_sel:DWORD src1_sel:WORD_1
	;; [unrolled: 1-line block ×6, first 2 shown]
	s_waitcnt vmcnt(0)
	v_mul_f16_sdwa v60, v37, v45 dst_sel:DWORD dst_unused:UNUSED_PAD src0_sel:DWORD src1_sel:WORD_1
	v_mul_f16_sdwa v61, v36, v44 dst_sel:DWORD dst_unused:UNUSED_PAD src0_sel:DWORD src1_sel:WORD_1
	;; [unrolled: 1-line block ×4, first 2 shown]
	v_fma_f16 v26, v26, v39, -v50
	v_fma_f16 v39, v5, v39, v51
	v_fma_f16 v27, v27, v48, v54
	v_fma_f16 v5, v32, v48, -v55
	v_mul_f16_sdwa v34, v12, v40 dst_sel:DWORD dst_unused:UNUSED_PAD src0_sel:DWORD src1_sel:WORD_1
	v_mul_f16_sdwa v53, v25, v42 dst_sel:DWORD dst_unused:UNUSED_PAD src0_sel:DWORD src1_sel:WORD_1
	;; [unrolled: 1-line block ×7, first 2 shown]
	v_fma_f16 v28, v12, v40, v28
	v_fma_f16 v29, v13, v41, v29
	v_fma_f16 v13, v33, v41, -v49
	v_fma_f16 v9, v9, v47, v57
	v_fma_f16 v32, v11, v45, v60
	;; [unrolled: 1-line block ×3, first 2 shown]
	v_fma_f16 v10, v36, v44, -v63
	v_fma_f16 v11, v38, v43, -v65
	v_sub_f16_e32 v36, v26, v5
	v_sub_f16_e32 v38, v39, v27
	v_mul_f16_sdwa v52, v6, v42 dst_sel:DWORD dst_unused:UNUSED_PAD src0_sel:DWORD src1_sel:WORD_1
	v_fma_f16 v12, v30, v40, -v34
	v_fma_f16 v30, v6, v42, v53
	v_fma_f16 v6, v31, v47, -v56
	v_fma_f16 v31, v8, v46, v58
	v_fma_f16 v34, v7, v43, v64
	v_fma_f16 v7, v35, v46, -v59
	v_fma_f16 v8, v37, v45, -v62
	v_add_f16_e32 v35, v39, v27
	v_add_f16_e32 v37, v4, v39
	;; [unrolled: 1-line block ×3, first 2 shown]
	v_sub_f16_e32 v40, v28, v9
	v_mul_f16_e32 v43, 0xbb47, v36
	v_mul_f16_e32 v44, 0xbbeb, v36
	;; [unrolled: 1-line block ×6, first 2 shown]
	v_fma_f16 v25, v25, v42, -v52
	v_add_f16_e32 v41, v12, v6
	v_mul_f16_e32 v48, 0xba0c, v40
	v_fma_f16 v49, v35, s0, -v46
	v_fma_f16 v46, v35, s0, v46
	v_fma_f16 v50, v35, s1, -v45
	v_fma_f16 v45, v35, s1, v45
	;; [unrolled: 2-line block ×4, first 2 shown]
	v_fma_f16 v53, v35, s10, v36
	v_fma_f16 v35, v35, s10, -v36
	v_fma_f16 v36, v39, s6, v47
	v_sub_f16_e32 v42, v29, v31
	v_fma_f16 v54, v41, s1, v48
	v_add_f16_e32 v52, v4, v52
	v_add_f16_e32 v51, v4, v51
	;; [unrolled: 1-line block ×12, first 2 shown]
	v_mul_f16_e32 v36, 0x3482, v42
	v_add_f16_e32 v54, v13, v7
	v_fma_f16 v55, v54, s0, v36
	v_add_f16_e32 v35, v55, v35
	v_sub_f16_e32 v55, v30, v32
	v_mul_f16_e32 v56, 0x3beb, v55
	v_add_f16_e32 v57, v25, v8
	v_fma_f16 v58, v57, s7, v56
	v_add_f16_e32 v35, v58, v35
	v_sub_f16_e32 v58, v34, v33
	v_mul_f16_e32 v59, 0x3853, v58
	v_add_f16_e32 v60, v11, v10
	v_fma_f16 v61, v60, s10, v59
	v_sub_f16_e32 v62, v12, v6
	v_add_f16_e32 v35, v61, v35
	v_add_f16_e32 v61, v28, v9
	v_mul_f16_e32 v63, 0xba0c, v62
	v_fma_f16 v64, v61, s1, -v63
	v_sub_f16_e32 v65, v13, v7
	v_add_f16_e32 v52, v64, v52
	v_add_f16_e32 v64, v29, v31
	v_mul_f16_e32 v66, 0x3482, v65
	v_fma_f16 v67, v64, s0, -v66
	;; [unrolled: 5-line block ×4, first 2 shown]
	v_add_f16_e32 v52, v73, v52
	v_mul_f16_e32 v73, 0xbbeb, v38
	v_fma_f16 v74, v39, s7, v73
	v_mul_f16_e32 v75, 0x3482, v40
	v_add_f16_e32 v74, v21, v74
	v_fma_f16 v76, v41, s0, v75
	v_add_f16_e32 v74, v76, v74
	v_mul_f16_e32 v76, 0x3b47, v42
	v_fma_f16 v77, v54, s6, v76
	v_add_f16_e32 v74, v77, v74
	v_mul_f16_e32 v77, 0xb853, v55
	;; [unrolled: 3-line block ×4, first 2 shown]
	v_fma_f16 v80, v61, s0, -v79
	v_add_f16_e32 v51, v80, v51
	v_mul_f16_e32 v80, 0x3b47, v65
	v_fma_f16 v81, v64, s6, -v80
	v_add_f16_e32 v51, v81, v51
	v_mul_f16_e32 v81, 0xb853, v68
	;; [unrolled: 3-line block ×4, first 2 shown]
	v_fma_f16 v84, v39, s1, v83
	v_mul_f16_e32 v85, 0x3beb, v40
	v_add_f16_e32 v84, v21, v84
	v_fma_f16 v86, v41, s7, v85
	v_add_f16_e32 v84, v86, v84
	v_mul_f16_e32 v86, 0xb853, v42
	v_fma_f16 v87, v54, s10, v86
	v_add_f16_e32 v84, v87, v84
	v_mul_f16_e32 v87, 0xb482, v55
	;; [unrolled: 3-line block ×4, first 2 shown]
	v_fma_f16 v90, v61, s7, -v89
	v_add_f16_e32 v50, v90, v50
	v_mul_f16_e32 v90, 0xb853, v65
	v_fma_f16 v91, v64, s10, -v90
	v_add_f16_e32 v50, v91, v50
	v_mul_f16_e32 v91, 0xb482, v68
	;; [unrolled: 3-line block ×4, first 2 shown]
	v_fma_f16 v94, v39, s0, v93
	v_mul_f16_e32 v95, 0x3853, v40
	v_add_f16_e32 v94, v21, v94
	v_fma_f16 v96, v41, s10, v95
	v_fma_f16 v47, v39, s6, -v47
	v_add_f16_e32 v94, v96, v94
	v_mul_f16_e32 v96, 0xba0c, v42
	v_fma_f16 v73, v39, s7, -v73
	v_add_f16_e32 v47, v21, v47
	v_fma_f16 v48, v41, s1, -v48
	v_fma_f16 v97, v54, s1, v96
	v_fma_f16 v83, v39, s1, -v83
	v_add_f16_e32 v73, v21, v73
	v_fma_f16 v75, v41, s0, -v75
	v_add_f16_e32 v47, v48, v47
	;; [unrolled: 2-line block ×3, first 2 shown]
	v_mul_f16_e32 v97, 0x3b47, v55
	v_fma_f16 v93, v39, s0, -v93
	v_add_f16_e32 v83, v21, v83
	v_fma_f16 v85, v41, s7, -v85
	v_add_f16_e32 v73, v75, v73
	;; [unrolled: 2-line block ×3, first 2 shown]
	v_fma_f16 v47, v57, s7, -v56
	v_fma_f16 v98, v57, s6, v97
	v_add_f16_e32 v93, v21, v93
	v_fma_f16 v95, v41, s10, -v95
	v_add_f16_e32 v83, v85, v83
	v_fma_f16 v85, v54, s10, -v86
	;; [unrolled: 2-line block ×4, first 2 shown]
	v_add_f16_e32 v94, v98, v94
	v_mul_f16_e32 v98, 0xbbeb, v58
	v_add_f16_e32 v93, v95, v93
	v_fma_f16 v95, v54, s1, -v96
	v_add_f16_e32 v83, v85, v83
	v_fma_f16 v85, v57, s0, -v87
	;; [unrolled: 2-line block ×3, first 2 shown]
	v_add_f16_e32 v36, v47, v36
	v_fma_f16 v47, v61, s1, v63
	v_fma_f16 v99, v60, s7, v98
	v_add_f16_e32 v93, v95, v93
	v_fma_f16 v95, v57, s6, -v97
	v_add_f16_e32 v83, v85, v83
	v_fma_f16 v85, v60, s6, -v88
	v_add_f16_e32 v73, v75, v73
	v_fma_f16 v75, v61, s0, v79
	v_add_f16_e32 v43, v47, v43
	v_fma_f16 v47, v64, s0, v66
	v_add_f16_e32 v94, v99, v94
	v_mul_f16_e32 v99, 0x3853, v62
	v_add_f16_e32 v93, v95, v93
	v_fma_f16 v95, v60, s7, -v98
	v_add_f16_e32 v83, v85, v83
	v_fma_f16 v85, v61, s7, v89
	v_add_f16_e32 v44, v75, v44
	v_fma_f16 v75, v64, s6, v80
	;; [unrolled: 2-line block ×3, first 2 shown]
	v_fma_f16 v100, v61, s10, -v99
	v_add_f16_e32 v93, v95, v93
	v_fma_f16 v95, v61, s10, v99
	v_add_f16_e32 v45, v85, v45
	v_fma_f16 v85, v64, s10, v90
	;; [unrolled: 2-line block ×4, first 2 shown]
	s_movk_i32 s10, 0x3853
	v_mul_f16_e32 v39, 0x3abb, v39
	v_add_f16_e32 v26, v21, v26
	v_add_f16_e32 v43, v47, v43
	v_fma_f16 v47, v38, s10, v39
	v_mul_f16_e32 v41, 0x36a6, v41
	v_add_f16_e32 v12, v26, v12
	v_add_f16_e32 v47, v21, v47
	v_fma_f16 v48, v40, s11, v41
	v_add_f16_e32 v12, v12, v13
	v_add_f16_e32 v47, v48, v47
	s_movk_i32 s10, 0x3beb
	v_mul_f16_e32 v48, 0xb08e, v54
	v_add_f16_e32 v12, v12, v25
	v_fma_f16 v54, v42, s10, v48
	v_add_f16_e32 v11, v12, v11
	v_add_f16_e32 v47, v54, v47
	v_mul_f16_e32 v54, 0xb93d, v57
	s_movk_i32 s10, 0x3a0c
	v_add_f16_e32 v10, v11, v10
	v_fma_f16 v56, v55, s10, v54
	v_add_f16_e32 v8, v10, v8
	v_add_f16_e32 v47, v56, v47
	s_movk_i32 s10, 0x3482
	v_mul_f16_e32 v56, 0xbbad, v60
	v_add_f16_e32 v7, v8, v7
	v_fma_f16 v57, v58, s10, v56
	v_add_f16_e32 v6, v7, v6
	s_mov_b32 s10, 0xb853
	v_add_f16_e32 v5, v6, v5
	v_fma_f16 v6, v38, s10, v39
	s_mov_b32 s10, 0xbb47
	v_add_f16_e32 v47, v57, v47
	v_mul_f16_e32 v57, 0xbb47, v62
	v_add_f16_e32 v6, v21, v6
	v_fma_f16 v7, v40, s10, v41
	s_mov_b32 s10, 0xbbeb
	v_fma_f16 v59, v61, s6, v57
	v_add_f16_e32 v6, v7, v6
	v_fma_f16 v7, v42, s10, v48
	s_mov_b32 s10, 0xba0c
	v_add_f16_e32 v53, v59, v53
	v_mul_f16_e32 v59, 0xbbeb, v65
	v_add_f16_e32 v28, v37, v28
	v_add_f16_e32 v6, v7, v6
	v_fma_f16 v7, v55, s10, v54
	s_mov_b32 s10, 0xb482
	v_fma_f16 v60, v64, s7, v59
	v_add_f16_e32 v28, v28, v29
	v_add_f16_e32 v6, v7, v6
	v_fma_f16 v7, v58, s10, v56
	v_add_f16_e32 v53, v60, v53
	v_mul_f16_e32 v60, 0xba0c, v68
	v_add_f16_e32 v28, v28, v30
	v_add_f16_e32 v6, v7, v6
	v_fma_f16 v7, v61, s6, -v57
	v_fma_f16 v62, v67, s1, v60
	v_add_f16_e32 v28, v28, v34
	v_add_f16_e32 v4, v7, v4
	v_fma_f16 v7, v64, s7, -v59
	v_add_f16_e32 v49, v100, v49
	v_mul_f16_e32 v100, 0xba0c, v65
	v_add_f16_e32 v53, v62, v53
	v_mul_f16_e32 v62, 0xb482, v71
	v_add_f16_e32 v28, v28, v33
	v_add_f16_e32 v4, v7, v4
	v_fma_f16 v7, v67, s1, -v60
	v_fma_f16 v101, v64, s1, -v100
	v_add_f16_e32 v28, v28, v32
	v_add_f16_e32 v4, v7, v4
	v_fma_f16 v7, v70, s0, -v62
	v_add_f16_e32 v49, v101, v49
	v_mul_f16_e32 v101, 0x3b47, v68
	v_add_f16_e32 v28, v28, v31
	v_add_f16_e32 v4, v7, v4
	v_lshrrev_b32_e32 v7, 2, v14
	v_fma_f16 v102, v67, s6, -v101
	v_add_f16_e32 v46, v95, v46
	v_fma_f16 v95, v64, s1, v100
	v_fma_f16 v63, v70, s0, v62
	v_add_f16_e32 v9, v28, v9
	v_mul_u32_u24_e32 v7, 44, v7
	v_add_f16_e32 v49, v102, v49
	v_mul_f16_e32 v102, 0xbbeb, v71
	v_add_f16_e32 v46, v95, v46
	v_fma_f16 v95, v67, s6, v101
	v_add_f16_e32 v45, v85, v45
	v_fma_f16 v85, v67, s0, v91
	;; [unrolled: 2-line block ×3, first 2 shown]
	v_add_f16_e32 v53, v63, v53
	v_add_f16_e32 v9, v9, v27
	v_or_b32_e32 v7, v7, v24
	v_add_f16_e32 v46, v95, v46
	v_fma_f16 v95, v70, s7, v102
	v_add_f16_e32 v45, v85, v45
	v_fma_f16 v85, v70, s6, v92
	v_add_f16_e32 v44, v75, v44
	v_lshl_add_u32 v7, v7, 2, 0
	v_pack_b32_f16 v5, v9, v5
	v_pack_b32_f16 v8, v53, v47
	v_fma_f16 v103, v70, s7, -v102
	v_add_f16_e32 v46, v95, v46
	v_add_f16_e32 v45, v85, v45
	ds_write2_b32 v7, v5, v8 offset1:4
	v_pack_b32_f16 v5, v43, v36
	v_pack_b32_f16 v8, v44, v73
	v_add_f16_e32 v49, v103, v49
	ds_write2_b32 v7, v5, v8 offset0:8 offset1:12
	v_pack_b32_f16 v5, v45, v83
	v_pack_b32_f16 v8, v46, v93
	ds_write2_b32 v7, v5, v8 offset0:16 offset1:20
	v_pack_b32_f16 v5, v49, v94
	v_pack_b32_f16 v8, v50, v84
	;; [unrolled: 3-line block ×3, first 2 shown]
	v_pack_b32_f16 v4, v4, v6
	ds_write2_b32 v7, v5, v8 offset0:32 offset1:36
	ds_write_b32 v7, v4 offset:160
.LBB0_17:
	s_or_b64 exec, exec, s[4:5]
	s_movk_i32 s0, 0xbb
	v_mul_lo_u16_sdwa v4, v14, s0 dst_sel:DWORD dst_unused:UNUSED_PAD src0_sel:BYTE_0 src1_sel:DWORD
	v_lshrrev_b16_e32 v4, 13, v4
	v_mul_lo_u16_e32 v5, 44, v4
	v_sub_u16_e32 v13, v14, v5
	v_mov_b32_e32 v5, 4
	v_lshlrev_b32_sdwa v6, v5, v13 dst_sel:DWORD dst_unused:UNUSED_PAD src0_sel:DWORD src1_sel:BYTE_0
	s_waitcnt lgkmcnt(0)
	s_barrier
	global_load_dwordx4 v[24:27], v6, s[8:9] offset:168
	v_mul_lo_u16_sdwa v6, v15, s0 dst_sel:DWORD dst_unused:UNUSED_PAD src0_sel:BYTE_0 src1_sel:DWORD
	v_lshrrev_b16_e32 v21, 13, v6
	v_mul_lo_u16_e32 v6, 44, v21
	v_sub_u16_e32 v15, v15, v6
	v_lshlrev_b32_sdwa v5, v5, v15 dst_sel:DWORD dst_unused:UNUSED_PAD src0_sel:DWORD src1_sel:BYTE_0
	global_load_dwordx4 v[28:31], v5, s[8:9] offset:168
	v_add_u32_e32 v8, 0xa00, v16
	ds_read_b32 v32, v16
	v_add_u32_e32 v6, v18, v22
	v_add_u32_e32 v5, v19, v23
	;; [unrolled: 1-line block ×5, first 2 shown]
	ds_read2_b32 v[11:12], v8 offset0:20 offset1:130
	ds_read2_b32 v[17:18], v9 offset0:112 offset1:222
	ds_read_b32 v23, v6
	ds_read_b32 v33, v5
	;; [unrolled: 1-line block ×3, first 2 shown]
	ds_read2_b32 v[19:20], v10 offset0:10 offset1:230
	s_waitcnt lgkmcnt(5)
	v_lshrrev_b32_e32 v41, 16, v11
	v_lshrrev_b32_e32 v37, 16, v12
	s_waitcnt lgkmcnt(2)
	v_lshrrev_b32_e32 v40, 16, v33
	v_lshrrev_b32_e32 v39, 16, v23
	v_lshrrev_b32_e32 v42, 16, v17
	v_lshrrev_b32_e32 v38, 16, v18
	s_mov_b32 s0, 0xbb9c
	s_movk_i32 s5, 0x3b9c
	s_mov_b32 s1, 0xb8b4
	s_waitcnt lgkmcnt(0)
	v_lshrrev_b32_e32 v36, 16, v20
	s_movk_i32 s7, 0x38b4
	s_movk_i32 s4, 0x34f2
	v_lshrrev_b32_e32 v43, 16, v19
	v_lshrrev_b32_e32 v35, 16, v32
	v_mov_b32_e32 v22, 2
	v_lshlrev_b32_sdwa v13, v22, v13 dst_sel:DWORD dst_unused:UNUSED_PAD src0_sel:DWORD src1_sel:BYTE_0
	v_lshlrev_b32_sdwa v15, v22, v15 dst_sel:DWORD dst_unused:UNUSED_PAD src0_sel:DWORD src1_sel:BYTE_0
	v_lshrrev_b32_e32 v22, 16, v34
	v_mul_u32_u24_e32 v4, 0x370, v4
	v_add3_u32 v4, 0, v4, v13
	s_waitcnt vmcnt(0)
	s_barrier
	s_movk_i32 s6, 0x370
	v_mul_f16_sdwa v46, v25, v40 dst_sel:DWORD dst_unused:UNUSED_PAD src0_sel:WORD_1 src1_sel:DWORD
	v_mul_f16_sdwa v48, v26, v41 dst_sel:DWORD dst_unused:UNUSED_PAD src0_sel:WORD_1 src1_sel:DWORD
	;; [unrolled: 1-line block ×8, first 2 shown]
	v_mul_f16_sdwa v56, v37, v30 dst_sel:DWORD dst_unused:UNUSED_PAD src0_sel:DWORD src1_sel:WORD_1
	v_mul_f16_sdwa v57, v12, v30 dst_sel:DWORD dst_unused:UNUSED_PAD src0_sel:DWORD src1_sel:WORD_1
	v_fma_f16 v33, v25, v33, v46
	v_fma_f16 v11, v26, v11, v48
	v_mul_f16_sdwa v58, v38, v31 dst_sel:DWORD dst_unused:UNUSED_PAD src0_sel:DWORD src1_sel:WORD_1
	v_mul_f16_sdwa v59, v18, v31 dst_sel:DWORD dst_unused:UNUSED_PAD src0_sel:DWORD src1_sel:WORD_1
	v_fma_f16 v23, v24, v23, v44
	v_fma_f16 v24, v24, v39, -v45
	v_fma_f16 v17, v27, v17, v50
	v_fma_f16 v27, v27, v42, -v51
	v_fma_f16 v12, v12, v30, v56
	v_fma_f16 v30, v37, v30, -v57
	v_add_f16_e32 v37, v33, v11
	v_fma_f16 v25, v25, v40, -v47
	v_fma_f16 v26, v26, v41, -v49
	v_fma_f16 v18, v18, v31, v58
	v_fma_f16 v31, v38, v31, -v59
	v_sub_f16_e32 v38, v24, v27
	v_sub_f16_e32 v40, v23, v33
	;; [unrolled: 1-line block ×3, first 2 shown]
	v_fma_f16 v37, v37, -0.5, v32
	v_sub_f16_e32 v39, v25, v26
	v_add_f16_e32 v40, v40, v41
	v_fma_f16 v41, v38, s0, v37
	v_fma_f16 v37, v38, s5, v37
	v_mul_f16_sdwa v54, v36, v29 dst_sel:DWORD dst_unused:UNUSED_PAD src0_sel:DWORD src1_sel:WORD_1
	v_mul_f16_sdwa v55, v20, v29 dst_sel:DWORD dst_unused:UNUSED_PAD src0_sel:DWORD src1_sel:WORD_1
	v_fma_f16 v41, v39, s1, v41
	v_fma_f16 v37, v39, s7, v37
	;; [unrolled: 1-line block ×3, first 2 shown]
	v_fma_f16 v29, v36, v29, -v55
	v_add_f16_e32 v36, v32, v23
	v_fma_f16 v41, v40, s4, v41
	v_fma_f16 v37, v40, s4, v37
	v_add_f16_e32 v40, v23, v17
	v_mul_f16_sdwa v52, v28, v43 dst_sel:DWORD dst_unused:UNUSED_PAD src0_sel:WORD_1 src1_sel:DWORD
	v_mul_f16_sdwa v53, v28, v19 dst_sel:DWORD dst_unused:UNUSED_PAD src0_sel:WORD_1 src1_sel:DWORD
	v_add_f16_e32 v36, v36, v33
	v_fma_f16 v32, v40, -0.5, v32
	v_fma_f16 v19, v28, v19, v52
	v_fma_f16 v28, v28, v43, -v53
	v_add_f16_e32 v36, v36, v11
	v_fma_f16 v40, v39, s5, v32
	v_sub_f16_e32 v42, v33, v23
	v_sub_f16_e32 v43, v11, v17
	v_fma_f16 v32, v39, s0, v32
	v_add_f16_e32 v39, v25, v26
	v_add_f16_e32 v36, v36, v17
	v_fma_f16 v40, v38, s1, v40
	v_add_f16_e32 v42, v42, v43
	v_fma_f16 v32, v38, s7, v32
	v_fma_f16 v39, v39, -0.5, v35
	v_sub_f16_e32 v17, v23, v17
	v_fma_f16 v40, v42, s4, v40
	v_fma_f16 v32, v42, s4, v32
	;; [unrolled: 1-line block ×3, first 2 shown]
	v_sub_f16_e32 v11, v33, v11
	v_sub_f16_e32 v33, v24, v25
	;; [unrolled: 1-line block ×3, first 2 shown]
	v_fma_f16 v39, v17, s0, v39
	v_fma_f16 v23, v11, s7, v23
	v_add_f16_e32 v33, v33, v42
	v_fma_f16 v39, v11, s1, v39
	v_fma_f16 v23, v33, s4, v23
	;; [unrolled: 1-line block ×3, first 2 shown]
	v_add_f16_e32 v39, v24, v27
	v_add_f16_e32 v38, v35, v24
	v_fma_f16 v35, v39, -0.5, v35
	v_add_f16_e32 v38, v38, v25
	v_fma_f16 v39, v11, s0, v35
	v_sub_f16_e32 v24, v25, v24
	v_sub_f16_e32 v25, v26, v27
	v_fma_f16 v11, v11, s5, v35
	v_fma_f16 v39, v17, s7, v39
	v_add_f16_e32 v24, v24, v25
	v_fma_f16 v11, v17, s1, v11
	v_fma_f16 v25, v24, s4, v39
	;; [unrolled: 1-line block ×3, first 2 shown]
	v_add_f16_e32 v24, v20, v12
	v_add_f16_e32 v38, v38, v26
	v_fma_f16 v24, v24, -0.5, v34
	v_sub_f16_e32 v26, v28, v31
	v_add_f16_e32 v38, v38, v27
	v_fma_f16 v27, v26, s0, v24
	v_sub_f16_e32 v35, v29, v30
	v_sub_f16_e32 v39, v19, v20
	;; [unrolled: 1-line block ×3, first 2 shown]
	v_fma_f16 v24, v26, s5, v24
	v_fma_f16 v27, v35, s1, v27
	v_add_f16_e32 v39, v39, v42
	v_fma_f16 v24, v35, s7, v24
	v_add_f16_e32 v17, v34, v19
	v_fma_f16 v27, v39, s4, v27
	v_fma_f16 v24, v39, s4, v24
	v_add_f16_e32 v39, v19, v18
	v_add_f16_e32 v17, v17, v20
	v_fma_f16 v34, v39, -0.5, v34
	v_add_f16_e32 v17, v17, v12
	v_fma_f16 v39, v35, s5, v34
	v_sub_f16_e32 v42, v20, v19
	v_sub_f16_e32 v43, v12, v18
	v_fma_f16 v34, v35, s0, v34
	v_add_f16_e32 v35, v29, v30
	v_add_f16_e32 v17, v17, v18
	v_fma_f16 v39, v26, s1, v39
	v_add_f16_e32 v42, v42, v43
	v_fma_f16 v26, v26, s7, v34
	v_fma_f16 v35, v35, -0.5, v22
	v_sub_f16_e32 v18, v19, v18
	v_fma_f16 v39, v42, s4, v39
	v_fma_f16 v26, v42, s4, v26
	v_fma_f16 v19, v18, s5, v35
	v_sub_f16_e32 v12, v20, v12
	v_sub_f16_e32 v20, v28, v29
	;; [unrolled: 1-line block ×3, first 2 shown]
	v_fma_f16 v35, v18, s0, v35
	v_fma_f16 v19, v12, s7, v19
	v_add_f16_e32 v20, v20, v42
	v_fma_f16 v35, v12, s1, v35
	v_fma_f16 v19, v20, s4, v19
	;; [unrolled: 1-line block ×3, first 2 shown]
	v_add_f16_e32 v35, v28, v31
	v_add_f16_e32 v34, v22, v28
	v_fma_f16 v22, v35, -0.5, v22
	v_fma_f16 v35, v12, s0, v22
	v_fma_f16 v12, v12, s5, v22
	v_fma_f16 v35, v18, s7, v35
	v_fma_f16 v12, v18, s1, v12
	v_pack_b32_f16 v13, v36, v38
	v_pack_b32_f16 v18, v41, v23
	v_add_f16_e32 v34, v34, v29
	ds_write2_b32 v4, v13, v18 offset1:44
	v_pack_b32_f16 v13, v40, v25
	v_pack_b32_f16 v11, v32, v11
	v_add_f16_e32 v34, v34, v30
	v_sub_f16_e32 v28, v29, v28
	v_sub_f16_e32 v29, v30, v31
	ds_write2_b32 v4, v13, v11 offset0:88 offset1:132
	v_pack_b32_f16 v11, v37, v33
	v_add_f16_e32 v34, v34, v31
	v_add_f16_e32 v28, v28, v29
	ds_write_b32 v4, v11 offset:704
	v_mul_u32_u24_e32 v4, 0x370, v21
	v_fma_f16 v29, v28, s4, v35
	v_fma_f16 v12, v28, s4, v12
	v_add3_u32 v4, 0, v4, v15
	v_pack_b32_f16 v11, v17, v34
	v_pack_b32_f16 v13, v27, v19
	ds_write2_b32 v4, v11, v13 offset1:44
	v_pack_b32_f16 v11, v39, v29
	v_pack_b32_f16 v12, v26, v12
	ds_write2_b32 v4, v11, v12 offset0:88 offset1:132
	v_pack_b32_f16 v11, v24, v20
	ds_write_b32 v4, v11 offset:704
	s_waitcnt lgkmcnt(0)
	s_barrier
	s_and_saveexec_b64 s[10:11], vcc
	s_cbranch_execz .LBB0_19
; %bb.18:
	v_mov_b32_e32 v4, 0
	v_lshlrev_b64 v[11:12], 2, v[3:4]
	v_mov_b32_e32 v15, s9
	v_add_co_u32_e32 v11, vcc, s8, v11
	v_addc_co_u32_e32 v12, vcc, v15, v12, vcc
	global_load_dwordx4 v[17:20], v[11:12], off offset:872
	v_mov_b32_e32 v3, v4
	v_lshlrev_b64 v[2:3], 2, v[2:3]
	ds_read2_b32 v[10:11], v10 offset0:10 offset1:230
	ds_read2_b32 v[12:13], v9 offset0:112 offset1:222
	;; [unrolled: 1-line block ×3, first 2 shown]
	ds_read_b32 v6, v6
	ds_read_b32 v7, v7
	;; [unrolled: 1-line block ×3, first 2 shown]
	v_add_co_u32_e32 v2, vcc, s8, v2
	v_addc_co_u32_e32 v3, vcc, v15, v3, vcc
	global_load_dwordx4 v[2:5], v[2:3], off offset:872
	s_waitcnt lgkmcnt(5)
	v_lshrrev_b32_e32 v15, 16, v10
	v_lshrrev_b32_e32 v22, 16, v11
	s_waitcnt lgkmcnt(4)
	v_lshrrev_b32_e32 v23, 16, v13
	s_waitcnt lgkmcnt(3)
	;; [unrolled: 2-line block ×3, first 2 shown]
	v_lshrrev_b32_e32 v25, 16, v7
	ds_read_b32 v16, v16
	s_waitcnt vmcnt(1)
	v_lshrrev_b32_e32 v26, 16, v18
	v_lshrrev_b32_e32 v27, 16, v19
	;; [unrolled: 1-line block ×3, first 2 shown]
	v_mul_f16_sdwa v29, v17, v10 dst_sel:DWORD dst_unused:UNUSED_PAD src0_sel:WORD_1 src1_sel:DWORD
	v_mul_f16_sdwa v30, v17, v15 dst_sel:DWORD dst_unused:UNUSED_PAD src0_sel:WORD_1 src1_sel:DWORD
	v_mul_f16_e32 v31, v20, v13
	v_mul_f16_e32 v32, v18, v11
	;; [unrolled: 1-line block ×3, first 2 shown]
	v_fma_f16 v15, v17, v15, -v29
	v_mul_f16_e32 v11, v26, v11
	v_mul_f16_e32 v13, v28, v13
	;; [unrolled: 1-line block ×3, first 2 shown]
	v_fma_f16 v10, v17, v10, v30
	v_fma_f16 v17, v23, v28, v31
	;; [unrolled: 1-line block ×4, first 2 shown]
	v_fma_f16 v11, v18, v22, -v11
	v_fma_f16 v13, v20, v23, -v13
	;; [unrolled: 1-line block ×3, first 2 shown]
	v_sub_f16_e32 v20, v10, v26
	v_sub_f16_e32 v22, v17, v27
	v_add_f16_e32 v23, v26, v27
	v_sub_f16_e32 v24, v26, v10
	v_sub_f16_e32 v28, v27, v17
	v_add_f16_e32 v29, v10, v17
	;; [unrolled: 3-line block ×3, first 2 shown]
	v_fma_f16 v22, v23, -0.5, v7
	v_sub_f16_e32 v23, v15, v13
	v_sub_f16_e32 v34, v11, v15
	v_add_f16_e32 v36, v15, v13
	v_add_f16_e32 v15, v15, v25
	;; [unrolled: 1-line block ×3, first 2 shown]
	v_sub_f16_e32 v33, v11, v9
	v_sub_f16_e32 v35, v9, v13
	v_add_f16_e32 v24, v24, v28
	v_fma_f16 v28, v29, -0.5, v7
	v_add_f16_e32 v29, v30, v31
	v_fma_f16 v31, v23, s5, v22
	v_fma_f16 v22, v23, s0, v22
	v_add_f16_e32 v11, v11, v15
	v_add_f16_e32 v7, v10, v7
	v_sub_f16_e32 v18, v10, v17
	v_fma_f16 v30, v32, -0.5, v25
	v_add_f16_e32 v32, v34, v35
	v_fma_f16 v35, v33, s0, v28
	v_fma_f16 v28, v33, s5, v28
	;; [unrolled: 1-line block ×4, first 2 shown]
	v_add_f16_e32 v9, v9, v11
	v_add_f16_e32 v7, v26, v7
	v_lshrrev_b32_e32 v10, 16, v6
	s_waitcnt vmcnt(0)
	v_mul_f16_sdwa v11, v2, v6 dst_sel:DWORD dst_unused:UNUSED_PAD src0_sel:WORD_1 src1_sel:DWORD
	v_sub_f16_e32 v19, v26, v27
	v_fma_f16 v34, v36, -0.5, v25
	v_fma_f16 v36, v18, s0, v30
	v_fma_f16 v35, v23, s7, v35
	;; [unrolled: 1-line block ×6, first 2 shown]
	v_add_f16_e32 v9, v13, v9
	v_add_f16_e32 v7, v27, v7
	v_fma_f16 v11, v2, v10, -v11
	s_waitcnt lgkmcnt(1)
	v_lshrrev_b32_e32 v13, 16, v21
	v_mul_f16_sdwa v15, v3, v21 dst_sel:DWORD dst_unused:UNUSED_PAD src0_sel:WORD_1 src1_sel:DWORD
	v_lshrrev_b32_e32 v22, 16, v12
	v_mul_f16_sdwa v25, v5, v12 dst_sel:DWORD dst_unused:UNUSED_PAD src0_sel:WORD_1 src1_sel:DWORD
	v_lshrrev_b32_e32 v26, 16, v8
	v_mul_f16_sdwa v27, v4, v8 dst_sel:DWORD dst_unused:UNUSED_PAD src0_sel:WORD_1 src1_sel:DWORD
	v_mul_f16_sdwa v10, v2, v10 dst_sel:DWORD dst_unused:UNUSED_PAD src0_sel:WORD_1 src1_sel:DWORD
	v_fma_f16 v37, v19, s5, v34
	v_fma_f16 v34, v19, s0, v34
	;; [unrolled: 1-line block ×4, first 2 shown]
	v_fma_f16 v15, v3, v13, -v15
	v_fma_f16 v25, v5, v22, -v25
	v_fma_f16 v27, v4, v26, -v27
	v_fma_f16 v6, v2, v6, v10
	v_mul_f16_sdwa v2, v5, v22 dst_sel:DWORD dst_unused:UNUSED_PAD src0_sel:WORD_1 src1_sel:DWORD
	v_fma_f16 v35, v24, s4, v35
	v_fma_f16 v23, v24, s4, v23
	;; [unrolled: 1-line block ×4, first 2 shown]
	v_add_f16_e32 v7, v17, v7
	v_sub_f16_e32 v17, v11, v15
	v_sub_f16_e32 v29, v25, v27
	v_fma_f16 v5, v5, v12, v2
	v_mul_f16_sdwa v12, v3, v13 dst_sel:DWORD dst_unused:UNUSED_PAD src0_sel:WORD_1 src1_sel:DWORD
	v_fma_f16 v33, v18, s1, v37
	v_fma_f16 v18, v18, s7, v34
	v_add_f16_e32 v17, v17, v29
	s_waitcnt lgkmcnt(0)
	v_lshrrev_b32_e32 v29, 16, v16
	v_add_f16_e32 v30, v15, v27
	v_fma_f16 v12, v3, v21, v12
	v_mul_f16_sdwa v3, v4, v26 dst_sel:DWORD dst_unused:UNUSED_PAD src0_sel:WORD_1 src1_sel:DWORD
	v_fma_f16 v28, v32, s4, v33
	v_fma_f16 v18, v32, s4, v18
	v_fma_f16 v30, v30, -0.5, v29
	v_sub_f16_e32 v2, v6, v5
	v_fma_f16 v8, v4, v8, v3
	v_sub_f16_e32 v32, v15, v11
	v_sub_f16_e32 v33, v27, v25
	v_fma_f16 v10, v2, s0, v30
	v_sub_f16_e32 v3, v12, v8
	v_add_f16_e32 v32, v32, v33
	v_add_f16_e32 v33, v11, v25
	v_fma_f16 v4, v3, s1, v10
	v_fma_f16 v33, v33, -0.5, v29
	v_fma_f16 v10, v17, s4, v4
	v_sub_f16_e32 v4, v6, v12
	v_sub_f16_e32 v13, v5, v8
	v_fma_f16 v34, v3, s5, v33
	v_fma_f16 v33, v3, s0, v33
	v_add_f16_e32 v4, v4, v13
	v_add_f16_e32 v13, v12, v8
	v_fma_f16 v34, v2, s1, v34
	v_fma_f16 v33, v2, s7, v33
	;; [unrolled: 1-line block ×3, first 2 shown]
	v_fma_f16 v13, v13, -0.5, v16
	v_sub_f16_e32 v21, v11, v25
	v_sub_f16_e32 v36, v12, v6
	;; [unrolled: 1-line block ×3, first 2 shown]
	v_fma_f16 v2, v3, s7, v2
	v_sub_f16_e32 v26, v15, v27
	v_add_f16_e32 v36, v36, v37
	v_add_f16_e32 v37, v6, v5
	v_fma_f16 v17, v17, s4, v2
	v_fma_f16 v2, v21, s0, v13
	;; [unrolled: 1-line block ×3, first 2 shown]
	v_fma_f16 v37, v37, -0.5, v16
	v_fma_f16 v2, v26, s1, v2
	v_fma_f16 v22, v26, s7, v22
	v_fma_f16 v34, v32, s4, v34
	v_fma_f16 v32, v32, s4, v33
	v_fma_f16 v33, v26, s5, v37
	v_fma_f16 v13, v4, s4, v2
	v_add_f16_e32 v2, v11, v29
	v_fma_f16 v22, v4, s4, v22
	v_fma_f16 v38, v26, s0, v37
	;; [unrolled: 1-line block ×3, first 2 shown]
	v_add_f16_e32 v4, v15, v2
	v_mad_u64_u32 v[2:3], s[0:1], s2, v14, 0
	v_add_f16_e32 v4, v4, v27
	v_add_f16_e32 v11, v25, v4
	;; [unrolled: 1-line block ×3, first 2 shown]
	v_mad_u64_u32 v[3:4], s[0:1], s3, v14, v[3:4]
	v_add_f16_e32 v4, v12, v6
	v_add_f16_e32 v4, v4, v8
	v_add_u32_e32 v12, 0xdc, v14
	v_add_f16_e32 v6, v5, v4
	v_mad_u64_u32 v[4:5], s[0:1], s2, v12, 0
	v_mov_b32_e32 v8, s13
	v_add_co_u32_e32 v15, vcc, s12, v0
	v_addc_co_u32_e32 v8, vcc, v8, v1, vcc
	v_lshlrev_b64 v[0:1], 2, v[2:3]
	v_mov_b32_e32 v2, v5
	v_mad_u64_u32 v[2:3], s[0:1], s3, v12, v[2:3]
	v_add_co_u32_e32 v0, vcc, v15, v0
	v_addc_co_u32_e32 v1, vcc, v8, v1, vcc
	v_pack_b32_f16 v3, v6, v11
	v_mov_b32_e32 v5, v2
	global_store_dword v[0:1], v3, off
	v_lshlrev_b64 v[0:1], 2, v[4:5]
	v_add_u32_e32 v4, 0x1b8, v14
	v_mad_u64_u32 v[2:3], s[0:1], s2, v4, 0
	v_add_u32_e32 v11, 0x294, v14
	v_add_co_u32_e32 v0, vcc, v15, v0
	v_mad_u64_u32 v[3:4], s[0:1], s3, v4, v[3:4]
	v_mad_u64_u32 v[4:5], s[0:1], s2, v11, 0
	v_addc_co_u32_e32 v1, vcc, v8, v1, vcc
	v_pack_b32_f16 v6, v13, v17
	global_store_dword v[0:1], v6, off
	v_lshlrev_b64 v[0:1], 2, v[2:3]
	v_mov_b32_e32 v2, v5
	v_mad_u64_u32 v[2:3], s[0:1], s3, v11, v[2:3]
	v_fma_f16 v33, v36, s4, v33
	v_add_co_u32_e32 v0, vcc, v15, v0
	v_addc_co_u32_e32 v1, vcc, v8, v1, vcc
	v_pack_b32_f16 v3, v33, v32
	v_mov_b32_e32 v5, v2
	global_store_dword v[0:1], v3, off
	v_lshlrev_b64 v[0:1], 2, v[4:5]
	v_add_u32_e32 v4, 0x370, v14
	v_mad_u64_u32 v[2:3], s[0:1], s2, v4, 0
	v_add_u32_e32 v5, 0x6e, v14
	v_lshrrev_b32_e32 v11, 2, v5
	s_mov_b32 s0, 0x94f2095
	v_mul_hi_u32 v11, v11, s0
	v_mad_u64_u32 v[3:4], s[0:1], s3, v4, v[3:4]
	v_fma_f16 v38, v21, s7, v38
	v_lshrrev_b32_e32 v4, 1, v11
	v_mad_u32_u24 v11, v4, s6, v5
	v_mad_u64_u32 v[4:5], s[0:1], s2, v11, 0
	v_fma_f16 v38, v36, s4, v38
	v_add_co_u32_e32 v0, vcc, v15, v0
	v_addc_co_u32_e32 v1, vcc, v8, v1, vcc
	v_pack_b32_f16 v6, v38, v34
	global_store_dword v[0:1], v6, off
	v_lshlrev_b64 v[0:1], 2, v[2:3]
	v_mov_b32_e32 v2, v5
	v_mad_u64_u32 v[2:3], s[0:1], s3, v11, v[2:3]
	v_add_co_u32_e32 v0, vcc, v15, v0
	v_addc_co_u32_e32 v1, vcc, v8, v1, vcc
	v_pack_b32_f16 v3, v22, v10
	v_mov_b32_e32 v5, v2
	global_store_dword v[0:1], v3, off
	v_lshlrev_b64 v[0:1], 2, v[4:5]
	v_add_u32_e32 v4, 0xdc, v11
	v_mad_u64_u32 v[2:3], s[0:1], s2, v4, 0
	v_pack_b32_f16 v6, v7, v9
	v_add_u32_e32 v7, 0x1b8, v11
	v_mad_u64_u32 v[3:4], s[0:1], s3, v4, v[3:4]
	v_mad_u64_u32 v[4:5], s[0:1], s2, v7, 0
	v_add_co_u32_e32 v0, vcc, v15, v0
	v_addc_co_u32_e32 v1, vcc, v8, v1, vcc
	global_store_dword v[0:1], v6, off
	v_lshlrev_b64 v[0:1], 2, v[2:3]
	v_mov_b32_e32 v2, v5
	v_mad_u64_u32 v[2:3], s[0:1], s3, v7, v[2:3]
	v_add_co_u32_e32 v0, vcc, v15, v0
	v_addc_co_u32_e32 v1, vcc, v8, v1, vcc
	v_pack_b32_f16 v3, v20, v19
	v_mov_b32_e32 v5, v2
	global_store_dword v[0:1], v3, off
	v_lshlrev_b64 v[0:1], 2, v[4:5]
	v_add_u32_e32 v4, 0x294, v11
	v_mad_u64_u32 v[2:3], s[0:1], s2, v4, 0
	v_add_u32_e32 v7, 0x370, v11
	v_add_co_u32_e32 v0, vcc, v15, v0
	v_mad_u64_u32 v[3:4], s[0:1], s3, v4, v[3:4]
	v_mad_u64_u32 v[4:5], s[0:1], s2, v7, 0
	v_addc_co_u32_e32 v1, vcc, v8, v1, vcc
	v_pack_b32_f16 v6, v23, v18
	global_store_dword v[0:1], v6, off
	v_lshlrev_b64 v[0:1], 2, v[2:3]
	v_mov_b32_e32 v2, v5
	v_mad_u64_u32 v[2:3], s[0:1], s3, v7, v[2:3]
	v_add_co_u32_e32 v0, vcc, v15, v0
	v_addc_co_u32_e32 v1, vcc, v8, v1, vcc
	v_pack_b32_f16 v3, v35, v28
	v_mov_b32_e32 v5, v2
	global_store_dword v[0:1], v3, off
	v_lshlrev_b64 v[0:1], 2, v[4:5]
	v_pack_b32_f16 v2, v31, v24
	v_add_co_u32_e32 v0, vcc, v15, v0
	v_addc_co_u32_e32 v1, vcc, v8, v1, vcc
	global_store_dword v[0:1], v2, off
.LBB0_19:
	s_endpgm
	.section	.rodata,"a",@progbits
	.p2align	6, 0x0
	.amdhsa_kernel fft_rtc_back_len1100_factors_2_2_11_5_5_wgs_110_tpt_110_half_ip_CI_sbrr_dirReg
		.amdhsa_group_segment_fixed_size 0
		.amdhsa_private_segment_fixed_size 0
		.amdhsa_kernarg_size 88
		.amdhsa_user_sgpr_count 6
		.amdhsa_user_sgpr_private_segment_buffer 1
		.amdhsa_user_sgpr_dispatch_ptr 0
		.amdhsa_user_sgpr_queue_ptr 0
		.amdhsa_user_sgpr_kernarg_segment_ptr 1
		.amdhsa_user_sgpr_dispatch_id 0
		.amdhsa_user_sgpr_flat_scratch_init 0
		.amdhsa_user_sgpr_private_segment_size 0
		.amdhsa_uses_dynamic_stack 0
		.amdhsa_system_sgpr_private_segment_wavefront_offset 0
		.amdhsa_system_sgpr_workgroup_id_x 1
		.amdhsa_system_sgpr_workgroup_id_y 0
		.amdhsa_system_sgpr_workgroup_id_z 0
		.amdhsa_system_sgpr_workgroup_info 0
		.amdhsa_system_vgpr_workitem_id 0
		.amdhsa_next_free_vgpr 104
		.amdhsa_next_free_sgpr 24
		.amdhsa_reserve_vcc 1
		.amdhsa_reserve_flat_scratch 0
		.amdhsa_float_round_mode_32 0
		.amdhsa_float_round_mode_16_64 0
		.amdhsa_float_denorm_mode_32 3
		.amdhsa_float_denorm_mode_16_64 3
		.amdhsa_dx10_clamp 1
		.amdhsa_ieee_mode 1
		.amdhsa_fp16_overflow 0
		.amdhsa_exception_fp_ieee_invalid_op 0
		.amdhsa_exception_fp_denorm_src 0
		.amdhsa_exception_fp_ieee_div_zero 0
		.amdhsa_exception_fp_ieee_overflow 0
		.amdhsa_exception_fp_ieee_underflow 0
		.amdhsa_exception_fp_ieee_inexact 0
		.amdhsa_exception_int_div_zero 0
	.end_amdhsa_kernel
	.text
.Lfunc_end0:
	.size	fft_rtc_back_len1100_factors_2_2_11_5_5_wgs_110_tpt_110_half_ip_CI_sbrr_dirReg, .Lfunc_end0-fft_rtc_back_len1100_factors_2_2_11_5_5_wgs_110_tpt_110_half_ip_CI_sbrr_dirReg
                                        ; -- End function
	.section	.AMDGPU.csdata,"",@progbits
; Kernel info:
; codeLenInByte = 8368
; NumSgprs: 28
; NumVgprs: 104
; ScratchSize: 0
; MemoryBound: 0
; FloatMode: 240
; IeeeMode: 1
; LDSByteSize: 0 bytes/workgroup (compile time only)
; SGPRBlocks: 3
; VGPRBlocks: 25
; NumSGPRsForWavesPerEU: 28
; NumVGPRsForWavesPerEU: 104
; Occupancy: 2
; WaveLimiterHint : 1
; COMPUTE_PGM_RSRC2:SCRATCH_EN: 0
; COMPUTE_PGM_RSRC2:USER_SGPR: 6
; COMPUTE_PGM_RSRC2:TRAP_HANDLER: 0
; COMPUTE_PGM_RSRC2:TGID_X_EN: 1
; COMPUTE_PGM_RSRC2:TGID_Y_EN: 0
; COMPUTE_PGM_RSRC2:TGID_Z_EN: 0
; COMPUTE_PGM_RSRC2:TIDIG_COMP_CNT: 0
	.type	__hip_cuid_89a83dc87aacbe6d,@object ; @__hip_cuid_89a83dc87aacbe6d
	.section	.bss,"aw",@nobits
	.globl	__hip_cuid_89a83dc87aacbe6d
__hip_cuid_89a83dc87aacbe6d:
	.byte	0                               ; 0x0
	.size	__hip_cuid_89a83dc87aacbe6d, 1

	.ident	"AMD clang version 19.0.0git (https://github.com/RadeonOpenCompute/llvm-project roc-6.4.0 25133 c7fe45cf4b819c5991fe208aaa96edf142730f1d)"
	.section	".note.GNU-stack","",@progbits
	.addrsig
	.addrsig_sym __hip_cuid_89a83dc87aacbe6d
	.amdgpu_metadata
---
amdhsa.kernels:
  - .args:
      - .actual_access:  read_only
        .address_space:  global
        .offset:         0
        .size:           8
        .value_kind:     global_buffer
      - .offset:         8
        .size:           8
        .value_kind:     by_value
      - .actual_access:  read_only
        .address_space:  global
        .offset:         16
        .size:           8
        .value_kind:     global_buffer
      - .actual_access:  read_only
        .address_space:  global
        .offset:         24
        .size:           8
        .value_kind:     global_buffer
      - .offset:         32
        .size:           8
        .value_kind:     by_value
      - .actual_access:  read_only
        .address_space:  global
        .offset:         40
        .size:           8
        .value_kind:     global_buffer
      - .actual_access:  read_only
        .address_space:  global
        .offset:         48
        .size:           8
        .value_kind:     global_buffer
      - .offset:         56
        .size:           4
        .value_kind:     by_value
      - .actual_access:  read_only
        .address_space:  global
        .offset:         64
        .size:           8
        .value_kind:     global_buffer
      - .actual_access:  read_only
        .address_space:  global
        .offset:         72
        .size:           8
        .value_kind:     global_buffer
      - .address_space:  global
        .offset:         80
        .size:           8
        .value_kind:     global_buffer
    .group_segment_fixed_size: 0
    .kernarg_segment_align: 8
    .kernarg_segment_size: 88
    .language:       OpenCL C
    .language_version:
      - 2
      - 0
    .max_flat_workgroup_size: 110
    .name:           fft_rtc_back_len1100_factors_2_2_11_5_5_wgs_110_tpt_110_half_ip_CI_sbrr_dirReg
    .private_segment_fixed_size: 0
    .sgpr_count:     28
    .sgpr_spill_count: 0
    .symbol:         fft_rtc_back_len1100_factors_2_2_11_5_5_wgs_110_tpt_110_half_ip_CI_sbrr_dirReg.kd
    .uniform_work_group_size: 1
    .uses_dynamic_stack: false
    .vgpr_count:     104
    .vgpr_spill_count: 0
    .wavefront_size: 64
amdhsa.target:   amdgcn-amd-amdhsa--gfx906
amdhsa.version:
  - 1
  - 2
...

	.end_amdgpu_metadata
